;; amdgpu-corpus repo=ROCm/rocFFT kind=compiled arch=gfx1201 opt=O3
	.text
	.amdgcn_target "amdgcn-amd-amdhsa--gfx1201"
	.amdhsa_code_object_version 6
	.protected	fft_rtc_back_len336_factors_6_7_8_wgs_336_tpt_56_half_op_CI_CI_sbcc_twdbase8_2step_dirReg ; -- Begin function fft_rtc_back_len336_factors_6_7_8_wgs_336_tpt_56_half_op_CI_CI_sbcc_twdbase8_2step_dirReg
	.globl	fft_rtc_back_len336_factors_6_7_8_wgs_336_tpt_56_half_op_CI_CI_sbcc_twdbase8_2step_dirReg
	.p2align	8
	.type	fft_rtc_back_len336_factors_6_7_8_wgs_336_tpt_56_half_op_CI_CI_sbcc_twdbase8_2step_dirReg,@function
fft_rtc_back_len336_factors_6_7_8_wgs_336_tpt_56_half_op_CI_CI_sbcc_twdbase8_2step_dirReg: ; @fft_rtc_back_len336_factors_6_7_8_wgs_336_tpt_56_half_op_CI_CI_sbcc_twdbase8_2step_dirReg
; %bb.0:
	s_clause 0x1
	s_load_b128 s[12:15], s[0:1], 0x18
	s_load_b64 s[26:27], s[0:1], 0x28
	s_mov_b32 s3, 0
	s_mov_b32 s4, 0xaaa80000
	s_movk_i32 s5, 0xaa
	s_mov_b32 s2, s3
	s_mov_b64 s[22:23], 0
	s_add_nc_u64 s[4:5], s[2:3], s[4:5]
	s_delay_alu instid0(SALU_CYCLE_1) | instskip(NEXT) | instid1(SALU_CYCLE_1)
	s_add_co_i32 s5, s5, 0x2aaaaa00
	s_mul_u64 s[6:7], s[4:5], -6
	s_delay_alu instid0(SALU_CYCLE_1)
	s_mul_hi_u32 s9, s4, s7
	s_mul_i32 s8, s4, s7
	s_mul_hi_u32 s2, s4, s6
	s_mul_i32 s11, s5, s6
	s_add_nc_u64 s[8:9], s[2:3], s[8:9]
	s_mul_hi_u32 s10, s5, s6
	s_mul_hi_u32 s16, s5, s7
	s_wait_kmcnt 0x0
	s_load_b64 s[28:29], s[12:13], 0x8
	s_add_co_u32 s2, s8, s11
	s_add_co_ci_u32 s2, s9, s10
	s_mul_i32 s6, s5, s7
	s_add_co_ci_u32 s7, s16, 0
	s_delay_alu instid0(SALU_CYCLE_1) | instskip(NEXT) | instid1(SALU_CYCLE_1)
	s_add_nc_u64 s[6:7], s[2:3], s[6:7]
	v_add_co_u32 v1, s2, s4, s6
	s_delay_alu instid0(VALU_DEP_1) | instskip(SKIP_1) | instid1(VALU_DEP_1)
	s_cmp_lg_u32 s2, 0
	s_add_co_ci_u32 s8, s5, s7
	v_readfirstlane_b32 s9, v1
	s_wait_kmcnt 0x0
	s_add_nc_u64 s[4:5], s[28:29], -1
	s_wait_alu 0xfffe
	s_mul_hi_u32 s7, s4, s8
	s_mul_i32 s6, s4, s8
	s_mul_hi_u32 s2, s4, s9
	s_mul_hi_u32 s11, s5, s9
	s_mul_i32 s9, s5, s9
	s_wait_alu 0xfffe
	s_add_nc_u64 s[6:7], s[2:3], s[6:7]
	s_mul_hi_u32 s10, s5, s8
	s_wait_alu 0xfffe
	s_add_co_u32 s2, s6, s9
	s_add_co_ci_u32 s2, s7, s11
	s_mul_i32 s8, s5, s8
	s_add_co_ci_u32 s9, s10, 0
	s_delay_alu instid0(SALU_CYCLE_1) | instskip(SKIP_2) | instid1(SALU_CYCLE_1)
	s_add_nc_u64 s[6:7], s[2:3], s[8:9]
	s_wait_alu 0xfffe
	s_mul_u64 s[8:9], s[6:7], 6
	v_sub_co_u32 v1, s2, s4, s8
	s_delay_alu instid0(VALU_DEP_1) | instskip(SKIP_1) | instid1(VALU_DEP_1)
	s_cmp_lg_u32 s2, 0
	s_sub_co_ci_u32 s10, s5, s9
	v_sub_co_u32 v2, s4, v1, 6
	s_delay_alu instid0(VALU_DEP_1) | instskip(SKIP_2) | instid1(VALU_DEP_2)
	s_cmp_lg_u32 s4, 0
	v_readfirstlane_b32 s11, v1
	s_sub_co_ci_u32 s8, s10, 0
	v_readfirstlane_b32 s2, v2
	s_add_nc_u64 s[4:5], s[6:7], 1
	s_delay_alu instid0(VALU_DEP_1)
	s_cmp_gt_u32 s2, 5
	s_cselect_b32 s2, -1, 0
	s_wait_alu 0xfffe
	s_cmp_eq_u32 s8, 0
	s_add_nc_u64 s[8:9], s[6:7], 2
	s_cselect_b32 s2, s2, -1
	s_delay_alu instid0(SALU_CYCLE_1)
	s_cmp_lg_u32 s2, 0
	s_wait_alu 0xfffe
	s_cselect_b32 s2, s8, s4
	s_cselect_b32 s4, s9, s5
	s_cmp_gt_u32 s11, 5
	s_cselect_b32 s5, -1, 0
	s_cmp_eq_u32 s10, 0
	s_wait_alu 0xfffe
	s_cselect_b32 s5, s5, -1
	s_wait_alu 0xfffe
	s_cmp_lg_u32 s5, 0
	s_cselect_b32 s5, s4, s7
	s_cselect_b32 s4, s2, s6
	s_mov_b32 s2, ttmp9
	s_wait_alu 0xfffe
	s_add_nc_u64 s[34:35], s[4:5], 1
	s_delay_alu instid0(SALU_CYCLE_1) | instskip(NEXT) | instid1(VALU_DEP_1)
	v_cmp_lt_u64_e64 s4, s[2:3], s[34:35]
	s_and_b32 vcc_lo, exec_lo, s4
	s_cbranch_vccnz .LBB0_2
; %bb.1:
	v_cvt_f32_u32_e32 v1, s34
	s_sub_co_i32 s5, 0, s34
	s_mov_b32 s23, s3
	s_delay_alu instid0(VALU_DEP_1) | instskip(NEXT) | instid1(TRANS32_DEP_1)
	v_rcp_iflag_f32_e32 v1, v1
	v_mul_f32_e32 v1, 0x4f7ffffe, v1
	s_delay_alu instid0(VALU_DEP_1) | instskip(NEXT) | instid1(VALU_DEP_1)
	v_cvt_u32_f32_e32 v1, v1
	v_readfirstlane_b32 s4, v1
	s_wait_alu 0xfffe
	s_delay_alu instid0(VALU_DEP_1)
	s_mul_i32 s5, s5, s4
	s_wait_alu 0xfffe
	s_mul_hi_u32 s5, s4, s5
	s_wait_alu 0xfffe
	s_add_co_i32 s4, s4, s5
	s_wait_alu 0xfffe
	s_mul_hi_u32 s4, s2, s4
	s_wait_alu 0xfffe
	s_mul_i32 s5, s4, s34
	s_add_co_i32 s6, s4, 1
	s_wait_alu 0xfffe
	s_sub_co_i32 s5, s2, s5
	s_wait_alu 0xfffe
	s_sub_co_i32 s7, s5, s34
	s_cmp_ge_u32 s5, s34
	s_cselect_b32 s4, s6, s4
	s_wait_alu 0xfffe
	s_cselect_b32 s5, s7, s5
	s_add_co_i32 s6, s4, 1
	s_wait_alu 0xfffe
	s_cmp_ge_u32 s5, s34
	s_cselect_b32 s22, s6, s4
.LBB0_2:
	s_load_b128 s[8:11], s[0:1], 0x8
	s_load_b128 s[16:19], s[14:15], 0x0
	;; [unrolled: 1-line block ×3, first 2 shown]
	s_load_b64 s[24:25], s[0:1], 0x0
	s_mul_u64 s[20:21], s[22:23], s[34:35]
	s_delay_alu instid0(SALU_CYCLE_1) | instskip(NEXT) | instid1(SALU_CYCLE_1)
	s_sub_nc_u64 s[20:21], s[2:3], s[20:21]
	s_mul_u64 s[36:37], s[20:21], 6
	s_wait_kmcnt 0x0
	v_cmp_lt_u64_e64 s33, s[10:11], 3
	s_mul_u64 s[30:31], s[18:19], s[36:37]
	s_mul_u64 s[20:21], s[6:7], s[36:37]
	s_delay_alu instid0(VALU_DEP_1)
	s_and_b32 vcc_lo, exec_lo, s33
	s_cbranch_vccnz .LBB0_12
; %bb.3:
	s_add_nc_u64 s[38:39], s[26:27], 16
	s_add_nc_u64 s[40:41], s[14:15], 16
	;; [unrolled: 1-line block ×3, first 2 shown]
	s_mov_b64 s[42:43], 2
	s_mov_b32 s44, 0
.LBB0_4:                                ; =>This Inner Loop Header: Depth=1
	s_load_b64 s[46:47], s[12:13], 0x0
                                        ; implicit-def: $sgpr50_sgpr51
	s_wait_kmcnt 0x0
	s_or_b64 s[48:49], s[22:23], s[46:47]
	s_delay_alu instid0(SALU_CYCLE_1)
	s_mov_b32 s45, s49
	s_mov_b32 s49, -1
	s_cmp_lg_u64 s[44:45], 0
	s_cbranch_scc0 .LBB0_6
; %bb.5:                                ;   in Loop: Header=BB0_4 Depth=1
	s_cvt_f32_u32 s33, s46
	s_cvt_f32_u32 s45, s47
	s_sub_nc_u64 s[52:53], 0, s[46:47]
	s_mov_b32 s49, 0
	s_mov_b32 s57, s44
	s_wait_alu 0xfffe
	s_fmamk_f32 s33, s45, 0x4f800000, s33
	s_wait_alu 0xfffe
	s_delay_alu instid0(SALU_CYCLE_2) | instskip(NEXT) | instid1(TRANS32_DEP_1)
	v_s_rcp_f32 s33, s33
	s_mul_f32 s33, s33, 0x5f7ffffc
	s_wait_alu 0xfffe
	s_delay_alu instid0(SALU_CYCLE_2) | instskip(NEXT) | instid1(SALU_CYCLE_3)
	s_mul_f32 s45, s33, 0x2f800000
	s_trunc_f32 s45, s45
	s_delay_alu instid0(SALU_CYCLE_3) | instskip(SKIP_2) | instid1(SALU_CYCLE_1)
	s_fmamk_f32 s33, s45, 0xcf800000, s33
	s_cvt_u32_f32 s51, s45
	s_wait_alu 0xfffe
	s_cvt_u32_f32 s50, s33
	s_wait_alu 0xfffe
	s_delay_alu instid0(SALU_CYCLE_2)
	s_mul_u64 s[54:55], s[52:53], s[50:51]
	s_wait_alu 0xfffe
	s_mul_hi_u32 s59, s50, s55
	s_mul_i32 s58, s50, s55
	s_mul_hi_u32 s48, s50, s54
	s_mul_i32 s45, s51, s54
	s_add_nc_u64 s[58:59], s[48:49], s[58:59]
	s_mul_hi_u32 s33, s51, s54
	s_mul_hi_u32 s60, s51, s55
	s_add_co_u32 s45, s58, s45
	s_wait_alu 0xfffe
	s_add_co_ci_u32 s56, s59, s33
	s_mul_i32 s54, s51, s55
	s_add_co_ci_u32 s55, s60, 0
	s_wait_alu 0xfffe
	s_add_nc_u64 s[54:55], s[56:57], s[54:55]
	s_wait_alu 0xfffe
	v_add_co_u32 v1, s33, s50, s54
	s_delay_alu instid0(VALU_DEP_1) | instskip(SKIP_1) | instid1(VALU_DEP_1)
	s_cmp_lg_u32 s33, 0
	s_add_co_ci_u32 s51, s51, s55
	v_readfirstlane_b32 s50, v1
	s_mov_b32 s55, s44
	s_wait_alu 0xfffe
	s_delay_alu instid0(VALU_DEP_1)
	s_mul_u64 s[52:53], s[52:53], s[50:51]
	s_wait_alu 0xfffe
	s_mul_hi_u32 s57, s50, s53
	s_mul_i32 s56, s50, s53
	s_mul_hi_u32 s48, s50, s52
	s_mul_i32 s45, s51, s52
	s_add_nc_u64 s[56:57], s[48:49], s[56:57]
	s_mul_hi_u32 s33, s51, s52
	s_mul_hi_u32 s50, s51, s53
	s_add_co_u32 s45, s56, s45
	s_wait_alu 0xfffe
	s_add_co_ci_u32 s54, s57, s33
	s_mul_i32 s52, s51, s53
	s_add_co_ci_u32 s53, s50, 0
	s_wait_alu 0xfffe
	s_add_nc_u64 s[52:53], s[54:55], s[52:53]
	s_wait_alu 0xfffe
	v_add_co_u32 v1, s33, v1, s52
	s_delay_alu instid0(VALU_DEP_1) | instskip(SKIP_1) | instid1(VALU_DEP_1)
	s_cmp_lg_u32 s33, 0
	s_add_co_ci_u32 s33, s51, s53
	v_readfirstlane_b32 s45, v1
	s_wait_alu 0xfffe
	s_mul_hi_u32 s51, s22, s33
	s_mul_i32 s50, s22, s33
	s_mul_hi_u32 s53, s23, s33
	s_mul_i32 s52, s23, s33
	;; [unrolled: 2-line block ×3, first 2 shown]
	s_wait_alu 0xfffe
	s_add_nc_u64 s[50:51], s[48:49], s[50:51]
	s_mul_hi_u32 s45, s23, s45
	s_wait_alu 0xfffe
	s_add_co_u32 s33, s50, s33
	s_add_co_ci_u32 s54, s51, s45
	s_add_co_ci_u32 s53, s53, 0
	s_wait_alu 0xfffe
	s_add_nc_u64 s[50:51], s[54:55], s[52:53]
	s_wait_alu 0xfffe
	s_mul_u64 s[52:53], s[46:47], s[50:51]
	s_add_nc_u64 s[54:55], s[50:51], 1
	s_wait_alu 0xfffe
	v_sub_co_u32 v1, s33, s22, s52
	s_sub_co_i32 s45, s23, s53
	s_cmp_lg_u32 s33, 0
	s_add_nc_u64 s[56:57], s[50:51], 2
	s_delay_alu instid0(VALU_DEP_1) | instskip(SKIP_2) | instid1(VALU_DEP_1)
	v_sub_co_u32 v2, s48, v1, s46
	s_sub_co_ci_u32 s45, s45, s47
	s_cmp_lg_u32 s48, 0
	v_readfirstlane_b32 s48, v2
	s_sub_co_ci_u32 s45, s45, 0
	s_delay_alu instid0(SALU_CYCLE_1) | instskip(SKIP_1) | instid1(VALU_DEP_1)
	s_cmp_ge_u32 s45, s47
	s_cselect_b32 s52, -1, 0
	s_cmp_ge_u32 s48, s46
	s_cselect_b32 s48, -1, 0
	s_cmp_eq_u32 s45, s47
	s_wait_alu 0xfffe
	s_cselect_b32 s45, s48, s52
	s_delay_alu instid0(SALU_CYCLE_1)
	s_cmp_lg_u32 s45, 0
	s_cselect_b32 s45, s56, s54
	s_cselect_b32 s48, s57, s55
	s_cmp_lg_u32 s33, 0
	v_readfirstlane_b32 s33, v1
	s_sub_co_ci_u32 s52, s23, s53
	s_wait_alu 0xfffe
	s_cmp_ge_u32 s52, s47
	s_cselect_b32 s53, -1, 0
	s_cmp_ge_u32 s33, s46
	s_cselect_b32 s33, -1, 0
	s_cmp_eq_u32 s52, s47
	s_wait_alu 0xfffe
	s_cselect_b32 s33, s33, s53
	s_wait_alu 0xfffe
	s_cmp_lg_u32 s33, 0
	s_cselect_b32 s51, s48, s51
	s_cselect_b32 s50, s45, s50
.LBB0_6:                                ;   in Loop: Header=BB0_4 Depth=1
	s_and_not1_b32 vcc_lo, exec_lo, s49
	s_cbranch_vccnz .LBB0_8
; %bb.7:                                ;   in Loop: Header=BB0_4 Depth=1
	v_cvt_f32_u32_e32 v1, s46
	s_sub_co_i32 s45, 0, s46
	s_mov_b32 s51, s44
	s_delay_alu instid0(VALU_DEP_1) | instskip(NEXT) | instid1(TRANS32_DEP_1)
	v_rcp_iflag_f32_e32 v1, v1
	v_mul_f32_e32 v1, 0x4f7ffffe, v1
	s_delay_alu instid0(VALU_DEP_1) | instskip(NEXT) | instid1(VALU_DEP_1)
	v_cvt_u32_f32_e32 v1, v1
	v_readfirstlane_b32 s33, v1
	s_delay_alu instid0(VALU_DEP_1) | instskip(NEXT) | instid1(SALU_CYCLE_1)
	s_mul_i32 s45, s45, s33
	s_mul_hi_u32 s45, s33, s45
	s_delay_alu instid0(SALU_CYCLE_1)
	s_add_co_i32 s33, s33, s45
	s_wait_alu 0xfffe
	s_mul_hi_u32 s33, s22, s33
	s_wait_alu 0xfffe
	s_mul_i32 s45, s33, s46
	s_add_co_i32 s48, s33, 1
	s_sub_co_i32 s45, s22, s45
	s_delay_alu instid0(SALU_CYCLE_1)
	s_sub_co_i32 s49, s45, s46
	s_cmp_ge_u32 s45, s46
	s_cselect_b32 s33, s48, s33
	s_cselect_b32 s45, s49, s45
	s_wait_alu 0xfffe
	s_add_co_i32 s48, s33, 1
	s_cmp_ge_u32 s45, s46
	s_cselect_b32 s50, s48, s33
.LBB0_8:                                ;   in Loop: Header=BB0_4 Depth=1
	s_load_b64 s[48:49], s[40:41], 0x0
	s_load_b64 s[52:53], s[38:39], 0x0
	s_add_nc_u64 s[42:43], s[42:43], 1
	s_mul_u64 s[34:35], s[46:47], s[34:35]
	s_wait_alu 0xfffe
	v_cmp_ge_u64_e64 s33, s[42:43], s[10:11]
	s_mul_u64 s[46:47], s[50:51], s[46:47]
	s_add_nc_u64 s[38:39], s[38:39], 8
	s_wait_alu 0xfffe
	s_sub_nc_u64 s[22:23], s[22:23], s[46:47]
	s_add_nc_u64 s[40:41], s[40:41], 8
	s_add_nc_u64 s[12:13], s[12:13], 8
	s_and_b32 vcc_lo, exec_lo, s33
	s_wait_kmcnt 0x0
	s_wait_alu 0xfffe
	s_mul_u64 s[46:47], s[48:49], s[22:23]
	s_mul_u64 s[22:23], s[52:53], s[22:23]
	s_wait_alu 0xfffe
	s_add_nc_u64 s[30:31], s[46:47], s[30:31]
	s_add_nc_u64 s[20:21], s[22:23], s[20:21]
	s_cbranch_vccnz .LBB0_10
; %bb.9:                                ;   in Loop: Header=BB0_4 Depth=1
	s_mov_b64 s[22:23], s[50:51]
	s_branch .LBB0_4
.LBB0_10:
	v_cmp_lt_u64_e64 s3, s[2:3], s[34:35]
	s_mov_b64 s[22:23], 0
	s_delay_alu instid0(VALU_DEP_1)
	s_and_b32 vcc_lo, exec_lo, s3
	s_cbranch_vccnz .LBB0_12
; %bb.11:
	v_cvt_f32_u32_e32 v1, s34
	s_sub_co_i32 s12, 0, s34
	s_mov_b32 s23, 0
	s_delay_alu instid0(VALU_DEP_1) | instskip(NEXT) | instid1(TRANS32_DEP_1)
	v_rcp_iflag_f32_e32 v1, v1
	v_mul_f32_e32 v1, 0x4f7ffffe, v1
	s_delay_alu instid0(VALU_DEP_1) | instskip(NEXT) | instid1(VALU_DEP_1)
	v_cvt_u32_f32_e32 v1, v1
	v_readfirstlane_b32 s3, v1
	s_delay_alu instid0(VALU_DEP_1) | instskip(NEXT) | instid1(SALU_CYCLE_1)
	s_mul_i32 s12, s12, s3
	s_mul_hi_u32 s12, s3, s12
	s_delay_alu instid0(SALU_CYCLE_1) | instskip(SKIP_4) | instid1(SALU_CYCLE_1)
	s_add_co_i32 s3, s3, s12
	s_wait_alu 0xfffe
	s_mul_hi_u32 s3, s2, s3
	s_wait_alu 0xfffe
	s_mul_i32 s12, s3, s34
	s_sub_co_i32 s2, s2, s12
	s_add_co_i32 s12, s3, 1
	s_wait_alu 0xfffe
	s_sub_co_i32 s13, s2, s34
	s_cmp_ge_u32 s2, s34
	s_cselect_b32 s3, s12, s3
	s_cselect_b32 s2, s13, s2
	s_wait_alu 0xfffe
	s_add_co_i32 s12, s3, 1
	s_cmp_ge_u32 s2, s34
	s_cselect_b32 s22, s12, s3
.LBB0_12:
	v_mul_u32_u24_e32 v1, 0x2aab, v0
	s_load_b128 s[0:3], s[0:1], 0x60
                                        ; implicit-def: $vgpr7
                                        ; implicit-def: $vgpr6
                                        ; implicit-def: $vgpr4
                                        ; implicit-def: $vgpr5
                                        ; implicit-def: $vgpr3
	s_delay_alu instid0(VALU_DEP_1) | instskip(NEXT) | instid1(VALU_DEP_1)
	v_lshrrev_b32_e32 v11, 16, v1
	v_mul_lo_u16 v1, v11, 6
	v_add_nc_u32_e32 v10, 0xa8, v11
	s_delay_alu instid0(VALU_DEP_2) | instskip(NEXT) | instid1(VALU_DEP_1)
	v_sub_nc_u16 v1, v0, v1
	v_and_b32_e32 v12, 0xffff, v1
	s_delay_alu instid0(VALU_DEP_1) | instskip(NEXT) | instid1(VALU_DEP_1)
	v_add_co_u32 v1, s12, s36, v12
	v_add_co_ci_u32_e64 v2, null, s37, 0, s12
	s_add_nc_u64 s[12:13], s[36:37], 6
	s_wait_alu 0xfffe
	v_cmp_le_u64_e64 s33, s[12:13], s[28:29]
	s_delay_alu instid0(VALU_DEP_2) | instskip(SKIP_3) | instid1(VALU_DEP_2)
	v_cmp_gt_u64_e32 vcc_lo, s[28:29], v[1:2]
	s_lshl_b64 s[12:13], s[10:11], 3
                                        ; implicit-def: $vgpr2
	s_wait_alu 0xfffe
	s_add_nc_u64 s[10:11], s[26:27], s[12:13]
	s_or_b32 s27, s33, vcc_lo
	s_delay_alu instid0(SALU_CYCLE_1)
	s_and_saveexec_b32 s26, s27
	s_cbranch_execz .LBB0_14
; %bb.13:
	s_add_nc_u64 s[12:13], s[14:15], s[12:13]
	v_mad_co_u64_u32 v[2:3], null, s18, v12, 0
	s_load_b64 s[12:13], s[12:13], 0x0
	v_mad_co_u64_u32 v[4:5], null, s16, v11, 0
	s_lshl_b64 s[14:15], s[30:31], 2
	v_mad_co_u64_u32 v[13:14], null, s16, v10, 0
	v_add_nc_u32_e32 v18, 0x70, v11
	v_add_nc_u32_e32 v22, 0x118, v11
	s_delay_alu instid0(VALU_DEP_4) | instskip(SKIP_1) | instid1(VALU_DEP_1)
	v_mad_co_u64_u32 v[8:9], null, s19, v12, v[3:4]
	v_mov_b32_e32 v3, v5
	v_mad_co_u64_u32 v[15:16], null, s17, v11, v[3:4]
	s_delay_alu instid0(VALU_DEP_3)
	v_mov_b32_e32 v3, v8
	v_mad_co_u64_u32 v[8:9], null, s16, v18, 0
	s_wait_kmcnt 0x0
	s_mul_u64 s[12:13], s[12:13], s[22:23]
	v_add_nc_u32_e32 v17, 56, v11
	s_wait_alu 0xfffe
	s_lshl_b64 s[12:13], s[12:13], 2
	v_lshlrev_b64_e32 v[2:3], 2, v[2:3]
	s_wait_alu 0xfffe
	s_add_nc_u64 s[0:1], s[0:1], s[12:13]
	s_delay_alu instid0(SALU_CYCLE_1)
	s_add_nc_u64 s[0:1], s[0:1], s[14:15]
	s_delay_alu instid0(VALU_DEP_1) | instid1(SALU_CYCLE_1)
	v_add_co_u32 v23, s0, s0, v2
	v_mov_b32_e32 v2, v9
	v_mad_co_u64_u32 v[6:7], null, s16, v17, 0
	s_wait_alu 0xf1ff
	v_add_co_ci_u32_e64 v24, s0, s1, v3, s0
	s_delay_alu instid0(VALU_DEP_2) | instskip(NEXT) | instid1(VALU_DEP_1)
	v_mov_b32_e32 v5, v7
	v_mad_co_u64_u32 v[16:17], null, s17, v17, v[5:6]
	v_mov_b32_e32 v5, v15
	s_delay_alu instid0(VALU_DEP_1) | instskip(NEXT) | instid1(VALU_DEP_3)
	v_lshlrev_b64_e32 v[3:4], 2, v[4:5]
	v_mov_b32_e32 v7, v16
	s_delay_alu instid0(VALU_DEP_2) | instskip(SKIP_1) | instid1(VALU_DEP_1)
	v_mad_co_u64_u32 v[15:16], null, s17, v18, v[2:3]
	v_mov_b32_e32 v2, v14
	v_mad_co_u64_u32 v[18:19], null, s17, v10, v[2:3]
	v_mad_co_u64_u32 v[19:20], null, s16, v22, 0
	v_add_nc_u32_e32 v21, 0xe0, v11
	v_add_co_u32 v2, s0, v23, v3
	s_wait_alu 0xf1ff
	v_add_co_ci_u32_e64 v3, s0, v24, v4, s0
	s_delay_alu instid0(VALU_DEP_3) | instskip(SKIP_3) | instid1(VALU_DEP_3)
	v_mad_co_u64_u32 v[16:17], null, s16, v21, 0
	v_mov_b32_e32 v14, v18
	v_lshlrev_b64_e32 v[5:6], 2, v[6:7]
	v_mov_b32_e32 v9, v15
	v_lshlrev_b64_e32 v[13:14], 2, v[13:14]
	v_mov_b32_e32 v4, v17
	s_delay_alu instid0(VALU_DEP_3) | instskip(NEXT) | instid1(VALU_DEP_2)
	v_lshlrev_b64_e32 v[7:8], 2, v[8:9]
	v_mad_co_u64_u32 v[17:18], null, s17, v21, v[4:5]
	v_mov_b32_e32 v4, v20
	v_add_co_u32 v5, s0, v23, v5
	s_wait_alu 0xf1ff
	v_add_co_ci_u32_e64 v6, s0, v24, v6, s0
	s_delay_alu instid0(VALU_DEP_2)
	v_mad_co_u64_u32 v[20:21], null, s17, v22, v[4:5]
	v_add_co_u32 v21, s0, v23, v7
	s_wait_alu 0xf1ff
	v_add_co_ci_u32_e64 v22, s0, v24, v8, s0
	v_lshlrev_b64_e32 v[7:8], 2, v[16:17]
	v_add_co_u32 v13, s0, v23, v13
	v_lshlrev_b64_e32 v[15:16], 2, v[19:20]
	s_wait_alu 0xf1ff
	v_add_co_ci_u32_e64 v14, s0, v24, v14, s0
	s_delay_alu instid0(VALU_DEP_4)
	v_add_co_u32 v17, s0, v23, v7
	s_wait_alu 0xf1ff
	v_add_co_ci_u32_e64 v18, s0, v24, v8, s0
	v_add_co_u32 v8, s0, v23, v15
	s_wait_alu 0xf1ff
	v_add_co_ci_u32_e64 v9, s0, v24, v16, s0
	s_clause 0x5
	global_load_b32 v7, v[2:3], off
	global_load_b32 v4, v[5:6], off
	;; [unrolled: 1-line block ×6, first 2 shown]
.LBB0_14:
	s_or_b32 exec_lo, exec_lo, s26
	s_wait_loadcnt 0x1
	v_add_f16_e32 v8, v6, v2
	v_lshrrev_b32_e32 v9, 16, v6
	v_lshrrev_b32_e32 v13, 16, v2
	;; [unrolled: 1-line block ×3, first 2 shown]
	s_wait_loadcnt 0x0
	v_lshrrev_b32_e32 v15, 16, v3
	v_pk_add_f16 v16, v7, v6
	v_fma_f16 v17, -0.5, v8, v7
	v_sub_f16_e32 v8, v9, v13
	v_lshrrev_b32_e32 v19, 16, v4
	v_add_f16_e32 v18, v14, v15
	v_add_f16_e32 v9, v9, v13
	v_lshrrev_b32_e32 v13, 16, v7
	v_add_f16_e32 v7, v5, v3
	v_fmamk_f16 v20, v8, 0xbaee, v17
	v_fmac_f16_e32 v19, -0.5, v18
	v_sub_f16_e32 v18, v5, v3
	v_fmac_f16_e32 v13, -0.5, v9
	v_fma_f16 v7, -0.5, v7, v4
	v_sub_f16_e32 v9, v14, v15
	v_fmac_f16_e32 v17, 0x3aee, v8
	v_fmamk_f16 v14, v18, 0x3aee, v19
	v_fmac_f16_e32 v19, 0xbaee, v18
	v_sub_f16_e32 v6, v6, v2
	v_fmamk_f16 v8, v9, 0xbaee, v7
	v_fmac_f16_e32 v7, 0x3aee, v9
	v_mul_f16_e32 v18, 0xbaee, v14
	v_mul_f16_e32 v9, 0xbaee, v19
	v_mul_f16_e32 v19, -0.5, v19
	v_mul_f16_e32 v21, 0x3aee, v8
	s_load_b64 s[10:11], s[10:11], 0x0
	v_fmamk_f16 v15, v6, 0x3aee, v13
	v_pk_add_f16 v4, v4, v5
	v_fmac_f16_e32 v18, 0.5, v8
	v_fmac_f16_e32 v21, 0.5, v14
	v_fmac_f16_e32 v13, 0xbaee, v6
	v_fmac_f16_e32 v9, -0.5, v7
	v_fmac_f16_e32 v19, 0x3aee, v7
	v_pk_add_f16 v22, v16, v2
	v_pk_add_f16 v23, v4, v3
	v_add_f16_e32 v4, v20, v18
	v_add_f16_e32 v7, v15, v21
	v_mad_u32_u24 v14, 0x90, v11, 0
	v_add_f16_e32 v3, v17, v9
	v_add_f16_e32 v8, v13, v19
	v_sub_f16_e32 v6, v20, v18
	v_sub_f16_e32 v5, v17, v9
	;; [unrolled: 1-line block ×4, first 2 shown]
	v_pk_add_f16 v2, v22, v23
	v_lshl_add_u32 v9, v12, 2, v14
	v_pack_b32_f16 v17, v4, v7
	v_pk_add_f16 v13, v22, v23 neg_lo:[0,1] neg_hi:[0,1]
	v_pack_b32_f16 v18, v3, v8
	v_pack_b32_f16 v19, v6, v15
	;; [unrolled: 1-line block ×3, first 2 shown]
	ds_store_2addr_b32 v9, v2, v17 offset1:6
	ds_store_2addr_b32 v9, v18, v13 offset0:12 offset1:18
	ds_store_2addr_b32 v9, v19, v20 offset0:24 offset1:30
	s_wait_kmcnt 0x0
	v_cmp_gt_u32_e64 s0, 0x120, v0
	v_lshrrev_b32_e32 v18, 16, v13
	v_lshlrev_b32_e32 v9, 2, v12
	global_wb scope:SCOPE_SE
	s_wait_dscnt 0x0
	s_barrier_signal -1
	s_barrier_wait -1
	global_inv scope:SCOPE_SE
                                        ; implicit-def: $vgpr19
                                        ; implicit-def: $vgpr17
	s_and_saveexec_b32 s1, s0
	s_cbranch_execz .LBB0_16
; %bb.15:
	v_mul_i32_i24_e32 v2, 0xffffff88, v11
	s_delay_alu instid0(VALU_DEP_1)
	v_add3_u32 v2, v14, v2, v9
	ds_load_b32 v4, v2 offset:1152
	ds_load_b32 v3, v2 offset:2304
	;; [unrolled: 1-line block ×6, first 2 shown]
	ds_load_b32 v2, v2
	s_wait_dscnt 0x6
	v_lshrrev_b32_e32 v7, 16, v4
	s_wait_dscnt 0x5
	v_lshrrev_b32_e32 v8, 16, v3
	;; [unrolled: 2-line block ×6, first 2 shown]
.LBB0_16:
	s_wait_alu 0xfffe
	s_or_b32 exec_lo, exec_lo, s1
	v_mul_lo_u16 v14, v11, 43
	s_delay_alu instid0(VALU_DEP_1) | instskip(NEXT) | instid1(VALU_DEP_1)
	v_lshrrev_b16 v14, 8, v14
	v_mul_lo_u16 v20, v14, 6
	s_delay_alu instid0(VALU_DEP_1) | instskip(NEXT) | instid1(VALU_DEP_1)
	v_sub_nc_u16 v20, v11, v20
	v_and_b32_e32 v21, 0xff, v20
	s_delay_alu instid0(VALU_DEP_1) | instskip(NEXT) | instid1(VALU_DEP_1)
	v_mul_u32_u24_e32 v20, 6, v21
	v_lshlrev_b32_e32 v20, 2, v20
	s_clause 0x1
	global_load_b128 v[22:25], v20, s[24:25]
	global_load_b64 v[26:27], v20, s[24:25] offset:16
	s_wait_dscnt 0x0
	v_lshrrev_b32_e32 v20, 16, v2
	global_wb scope:SCOPE_SE
	s_wait_loadcnt 0x0
	s_barrier_signal -1
	s_barrier_wait -1
	global_inv scope:SCOPE_SE
	v_lshrrev_b32_e32 v28, 16, v22
	v_lshrrev_b32_e32 v29, 16, v23
	;; [unrolled: 1-line block ×6, first 2 shown]
	v_mul_f16_e32 v34, v7, v28
	v_mul_f16_e32 v28, v4, v28
	;; [unrolled: 1-line block ×12, first 2 shown]
	v_fmac_f16_e32 v34, v4, v22
	v_fma_f16 v4, v7, v22, -v28
	v_fmac_f16_e32 v35, v3, v23
	v_fma_f16 v3, v8, v23, -v29
	v_fmac_f16_e32 v37, v6, v25
	v_fmac_f16_e32 v39, v17, v27
	v_fma_f16 v6, v19, v27, -v33
	v_fmac_f16_e32 v38, v5, v26
	v_fma_f16 v5, v16, v26, -v32
	;; [unrolled: 2-line block ×3, first 2 shown]
	v_fma_f16 v8, v15, v25, -v31
	v_add_f16_e32 v13, v34, v39
	v_add_f16_e32 v15, v4, v6
	v_sub_f16_e32 v4, v4, v6
	v_add_f16_e32 v6, v35, v38
	v_add_f16_e32 v17, v3, v5
	v_sub_f16_e32 v16, v34, v39
	v_sub_f16_e32 v18, v35, v38
	;; [unrolled: 1-line block ×3, first 2 shown]
	v_add_f16_e32 v5, v36, v37
	v_add_f16_e32 v19, v7, v8
	v_sub_f16_e32 v22, v37, v36
	v_sub_f16_e32 v7, v8, v7
	v_add_f16_e32 v8, v6, v13
	v_add_f16_e32 v23, v17, v15
	v_sub_f16_e32 v24, v6, v13
	v_sub_f16_e32 v25, v17, v15
	;; [unrolled: 1-line block ×6, first 2 shown]
	v_add_f16_e32 v26, v22, v18
	v_add_f16_e32 v27, v7, v3
	v_sub_f16_e32 v28, v22, v18
	v_sub_f16_e32 v29, v7, v3
	;; [unrolled: 1-line block ×4, first 2 shown]
	v_add_f16_e32 v5, v5, v8
	v_add_f16_e32 v8, v19, v23
	v_sub_f16_e32 v22, v16, v22
	v_sub_f16_e32 v7, v4, v7
	v_add_f16_e32 v16, v26, v16
	v_add_f16_e32 v4, v27, v4
	v_mul_f16_e32 v19, 0x3a52, v13
	v_mul_f16_e32 v15, 0x3a52, v15
	;; [unrolled: 1-line block ×8, first 2 shown]
	v_add_f16_e32 v2, v2, v5
	v_add_f16_e32 v13, v20, v8
	v_fmamk_f16 v6, v6, 0x2b26, v19
	v_fmamk_f16 v17, v17, 0x2b26, v15
	v_fma_f16 v20, v24, 0x39e0, -v23
	v_fma_f16 v23, v25, 0x39e0, -v26
	;; [unrolled: 1-line block ×4, first 2 shown]
	v_fmamk_f16 v24, v22, 0xb574, v27
	v_fmamk_f16 v25, v7, 0xb574, v28
	v_fma_f16 v18, v18, 0xbb00, -v27
	v_fma_f16 v26, v3, 0xbb00, -v28
	;; [unrolled: 1-line block ×4, first 2 shown]
	v_fmamk_f16 v3, v5, 0xbcab, v2
	v_fmamk_f16 v5, v8, 0xbcab, v13
	v_fmac_f16_e32 v24, 0xb70e, v16
	v_fmac_f16_e32 v25, 0xb70e, v4
	;; [unrolled: 1-line block ×6, first 2 shown]
	v_add_f16_e32 v8, v6, v3
	v_add_f16_e32 v27, v17, v5
	;; [unrolled: 1-line block ×7, first 2 shown]
	v_sub_f16_e32 v15, v27, v24
	v_add_f16_e32 v4, v7, v19
	v_sub_f16_e32 v16, v20, v22
	v_sub_f16_e32 v5, v6, v26
	v_add_f16_e32 v17, v18, v23
	v_add_f16_e32 v6, v26, v6
	v_sub_f16_e32 v18, v23, v18
	v_sub_f16_e32 v7, v19, v7
	v_add_f16_e32 v19, v22, v20
	v_sub_f16_e32 v8, v8, v25
	v_add_f16_e32 v20, v24, v27
	s_and_saveexec_b32 s1, s0
	s_cbranch_execz .LBB0_18
; %bb.17:
	v_and_b32_e32 v14, 0xffff, v14
	v_perm_b32 v22, v15, v3, 0x5040100
	v_perm_b32 v23, v16, v4, 0x5040100
	;; [unrolled: 1-line block ×4, first 2 shown]
	v_mad_u32_u24 v14, v14, 42, v21
	v_perm_b32 v21, v13, v2, 0x5040100
	v_perm_b32 v26, v19, v7, 0x5040100
	;; [unrolled: 1-line block ×3, first 2 shown]
	s_delay_alu instid0(VALU_DEP_4) | instskip(NEXT) | instid1(VALU_DEP_1)
	v_mul_u32_u24_e32 v14, 24, v14
	v_add3_u32 v14, 0, v14, v9
	ds_store_2addr_b32 v14, v21, v22 offset1:36
	ds_store_2addr_b32 v14, v23, v24 offset0:72 offset1:108
	ds_store_2addr_b32 v14, v25, v26 offset0:144 offset1:180
	ds_store_b32 v14, v27 offset:864
.LBB0_18:
	s_wait_alu 0xfffe
	s_or_b32 exec_lo, exec_lo, s1
	v_cmp_gt_u32_e64 s0, 0xfc, v0
	global_wb scope:SCOPE_SE
	s_wait_dscnt 0x0
	s_barrier_signal -1
	s_barrier_wait -1
	global_inv scope:SCOPE_SE
                                        ; implicit-def: $vgpr24
	s_and_saveexec_b32 s1, s0
	s_cbranch_execz .LBB0_20
; %bb.19:
	v_mul_u32_u24_e32 v0, 24, v11
	s_delay_alu instid0(VALU_DEP_1) | instskip(NEXT) | instid1(VALU_DEP_1)
	v_add3_u32 v0, 0, v0, v9
	v_add_nc_u32_e32 v4, 0x7e0, v0
	v_add_nc_u32_e32 v6, 0xfc0, v0
	ds_load_2addr_b32 v[2:3], v0 offset1:252
	v_add_nc_u32_e32 v0, 0x17a0, v0
	ds_load_2addr_b32 v[4:5], v4 offset1:252
	ds_load_2addr_b32 v[6:7], v6 offset1:252
	;; [unrolled: 1-line block ×3, first 2 shown]
	s_wait_dscnt 0x3
	v_lshrrev_b32_e32 v13, 16, v2
	v_lshrrev_b32_e32 v15, 16, v3
	s_wait_dscnt 0x2
	v_lshrrev_b32_e32 v16, 16, v4
	v_lshrrev_b32_e32 v17, 16, v5
	;; [unrolled: 3-line block ×4, first 2 shown]
.LBB0_20:
	s_wait_alu 0xfffe
	s_or_b32 exec_lo, exec_lo, s1
	v_mul_lo_u16 v0, v11, 49
	s_and_b32 s1, s0, s33
	s_delay_alu instid0(VALU_DEP_1) | instskip(NEXT) | instid1(VALU_DEP_1)
	v_lshrrev_b16 v0, 11, v0
	v_mul_lo_u16 v0, v0, 42
	s_delay_alu instid0(VALU_DEP_1) | instskip(NEXT) | instid1(VALU_DEP_1)
	v_sub_nc_u16 v0, v11, v0
	v_and_b32_e32 v0, 0xff, v0
	s_delay_alu instid0(VALU_DEP_1)
	v_mul_u32_u24_e32 v14, 7, v0
	v_mul_lo_u32 v21, v1, v0
	v_add_nc_u32_e32 v25, 0x7e, v0
	v_add_nc_u32_e32 v26, 0xa8, v0
	v_add_nc_u32_e32 v29, 0xd2, v0
	v_lshlrev_b32_e32 v14, 2, v14
	v_add_nc_u32_e32 v22, 42, v0
	v_add_nc_u32_e32 v23, 0x54, v0
	;; [unrolled: 1-line block ×4, first 2 shown]
	v_mul_lo_u32 v33, v1, v25
	v_mul_lo_u32 v34, v1, v26
	global_load_b128 v[25:28], v14, s[24:25] offset:144
	v_mul_lo_u32 v35, v1, v29
	global_load_b96 v[29:31], v14, s[24:25] offset:160
	v_and_b32_e32 v36, 0xff, v21
	v_mul_lo_u32 v22, v1, v22
	v_lshrrev_b32_e32 v21, 6, v21
	v_mul_lo_u32 v23, v1, v23
	v_mul_lo_u32 v14, v1, v32
	;; [unrolled: 1-line block ×3, first 2 shown]
	v_lshlrev_b32_e32 v1, 2, v36
	v_and_b32_e32 v21, 0x3fc, v21
	s_clause 0x1
	global_load_b32 v41, v1, s[8:9]
	global_load_b32 v42, v21, s[8:9] offset:1024
	v_and_b32_e32 v32, 0xff, v22
	v_lshrrev_b32_e32 v22, 6, v22
	v_and_b32_e32 v36, 0xff, v23
	v_lshrrev_b32_e32 v23, 6, v23
	;; [unrolled: 2-line block ×7, first 2 shown]
	v_lshlrev_b32_e32 v21, 2, v32
	v_and_b32_e32 v22, 0x3fc, v22
	v_lshlrev_b32_e32 v32, 2, v36
	v_and_b32_e32 v23, 0x3fc, v23
	;; [unrolled: 2-line block ×7, first 2 shown]
	s_clause 0xd
	global_load_b32 v40, v21, s[8:9]
	global_load_b32 v43, v22, s[8:9] offset:1024
	global_load_b32 v32, v32, s[8:9]
	global_load_b32 v44, v23, s[8:9] offset:1024
	;; [unrolled: 2-line block ×7, first 2 shown]
	v_add_nc_u32_e32 v22, 42, v11
	v_add_nc_u32_e32 v23, 0x54, v11
	;; [unrolled: 1-line block ×6, first 2 shown]
	s_mul_u64 s[8:9], s[10:11], s[22:23]
	s_wait_alu 0xfffe
	s_add_nc_u64 s[8:9], s[8:9], s[20:21]
	s_wait_loadcnt 0x11
	v_lshrrev_b32_e32 v48, 16, v25
	v_lshrrev_b32_e32 v49, 16, v26
	;; [unrolled: 1-line block ×4, first 2 shown]
	s_wait_loadcnt 0x10
	v_lshrrev_b32_e32 v52, 16, v29
	v_lshrrev_b32_e32 v53, 16, v30
	;; [unrolled: 1-line block ×3, first 2 shown]
	v_mul_f16_e32 v55, v15, v48
	v_mul_f16_e32 v48, v3, v48
	;; [unrolled: 1-line block ×14, first 2 shown]
	s_wait_loadcnt 0xf
	v_lshrrev_b32_e32 v62, 16, v41
	s_wait_loadcnt 0xe
	v_lshrrev_b32_e32 v63, 16, v42
	v_fmac_f16_e32 v55, v3, v25
	v_fma_f16 v3, v15, v25, -v48
	v_fmac_f16_e32 v56, v4, v26
	v_fma_f16 v4, v16, v26, -v49
	;; [unrolled: 2-line block ×7, first 2 shown]
	v_mul_f16_e32 v15, v62, v63
	v_mul_f16_e32 v16, v41, v63
	s_wait_loadcnt 0xd
	v_lshrrev_b32_e32 v17, 16, v40
	s_wait_loadcnt 0xc
	v_lshrrev_b32_e32 v18, 16, v43
	;; [unrolled: 2-line block ×10, first 2 shown]
	v_sub_f16_e32 v50, v2, v58
	v_sub_f16_e32 v6, v13, v6
	;; [unrolled: 1-line block ×8, first 2 shown]
	s_wait_loadcnt 0x3
	v_lshrrev_b32_e32 v30, 16, v39
	s_wait_loadcnt 0x2
	v_lshrrev_b32_e32 v31, 16, v45
	v_fma_f16 v15, v41, v42, -v15
	v_fmac_f16_e32 v16, v62, v42
	v_mul_f16_e32 v41, v17, v18
	v_mul_f16_e32 v18, v40, v18
	v_mul_f16_e32 v42, v19, v20
	v_mul_f16_e32 v20, v32, v20
	v_mul_f16_e32 v54, v24, v25
	v_mul_f16_e32 v25, v36, v25
	v_mul_f16_e32 v58, v26, v27
	v_mul_f16_e32 v27, v37, v27
	v_mul_f16_e32 v59, v28, v29
	v_mul_f16_e32 v29, v38, v29
	v_fma_f16 v2, v2, 2.0, -v50
	v_fma_f16 v13, v13, 2.0, -v6
	;; [unrolled: 1-line block ×8, first 2 shown]
	v_add_f16_e32 v8, v50, v8
	v_sub_f16_e32 v51, v6, v51
	v_add_f16_e32 v9, v52, v9
	v_sub_f16_e32 v53, v7, v53
	s_wait_loadcnt 0x1
	v_lshrrev_b32_e32 v48, 16, v46
	s_wait_loadcnt 0x0
	v_lshrrev_b32_e32 v49, 16, v47
	v_mul_f16_e32 v60, v30, v31
	v_fmac_f16_e32 v18, v17, v43
	v_fma_f16 v17, v32, v44, -v42
	v_fmac_f16_e32 v20, v19, v44
	v_fma_f16 v19, v36, v33, -v54
	;; [unrolled: 2-line block ×4, first 2 shown]
	v_fmac_f16_e32 v29, v28, v35
	v_sub_f16_e32 v32, v2, v56
	v_sub_f16_e32 v4, v13, v4
	v_fma_f16 v33, v50, 2.0, -v8
	v_fma_f16 v6, v6, 2.0, -v51
	v_sub_f16_e32 v34, v55, v57
	v_sub_f16_e32 v5, v3, v5
	v_fma_f16 v35, v52, 2.0, -v9
	v_fma_f16 v7, v7, 2.0, -v53
	v_mul_f16_e32 v31, v39, v31
	v_mul_f16_e32 v61, v48, v49
	;; [unrolled: 1-line block ×3, first 2 shown]
	v_fma_f16 v40, v40, v43, -v41
	v_fma_f16 v28, v39, v45, -v60
	v_fmamk_f16 v36, v9, 0x39a8, v8
	v_fmamk_f16 v37, v53, 0x39a8, v51
	v_fma_f16 v2, v2, 2.0, -v32
	v_fma_f16 v13, v13, 2.0, -v4
	;; [unrolled: 1-line block ×4, first 2 shown]
	v_fmamk_f16 v39, v35, 0xb9a8, v33
	v_fmamk_f16 v41, v7, 0xb9a8, v6
	v_fmac_f16_e32 v31, v30, v45
	v_fmac_f16_e32 v49, v48, v47
	v_add_f16_e32 v5, v32, v5
	v_sub_f16_e32 v34, v4, v34
	v_fmac_f16_e32 v36, 0x39a8, v53
	v_fmac_f16_e32 v37, 0xb9a8, v9
	v_sub_f16_e32 v9, v2, v38
	v_sub_f16_e32 v3, v13, v3
	v_fmac_f16_e32 v39, 0x39a8, v7
	v_fmac_f16_e32 v41, 0xb9a8, v35
	v_fma_f16 v30, v46, v47, -v61
	v_fma_f16 v7, v32, 2.0, -v5
	v_fma_f16 v4, v4, 2.0, -v34
	;; [unrolled: 1-line block ×4, first 2 shown]
	v_mul_f16_e32 v35, v34, v31
	v_mul_f16_e32 v31, v5, v31
	;; [unrolled: 1-line block ×4, first 2 shown]
	v_fma_f16 v43, v2, 2.0, -v9
	v_fma_f16 v13, v13, 2.0, -v3
	;; [unrolled: 1-line block ×4, first 2 shown]
	v_mul_f16_e32 v44, v4, v20
	v_mul_f16_e32 v2, v7, v20
	;; [unrolled: 1-line block ×8, first 2 shown]
	v_fmac_f16_e32 v35, v5, v28
	v_fma_f16 v5, v34, v28, -v31
	v_fmac_f16_e32 v38, v36, v30
	v_fma_f16 v28, v37, v30, -v42
	v_mul_f16_e32 v30, v16, v13
	v_mul_f16_e32 v16, v16, v43
	;; [unrolled: 1-line block ×4, first 2 shown]
	v_fmac_f16_e32 v44, v7, v17
	v_fma_f16 v4, v4, v17, -v2
	v_fmac_f16_e32 v20, v8, v19
	v_fma_f16 v8, v32, v19, -v25
	;; [unrolled: 2-line block ×6, first 2 shown]
	v_perm_b32 v2, v5, v35, 0x5040100
	v_perm_b32 v7, v4, v44, 0x5040100
	;; [unrolled: 1-line block ×8, first 2 shown]
	s_and_saveexec_b32 s10, s1
	s_cbranch_execz .LBB0_22
; %bb.21:
	v_mad_co_u64_u32 v[15:16], null, s6, v12, 0
	v_mad_co_u64_u32 v[17:18], null, s4, v11, 0
	;; [unrolled: 1-line block ×3, first 2 shown]
	s_wait_alu 0xfffe
	s_lshl_b64 s[12:13], s[8:9], 2
	s_wait_alu 0xfffe
	s_add_nc_u64 s[12:13], s[2:3], s[12:13]
	s_delay_alu instid0(VALU_DEP_2) | instskip(NEXT) | instid1(VALU_DEP_1)
	v_dual_mov_b32 v13, v16 :: v_dual_mov_b32 v16, v18
	v_mad_co_u64_u32 v[24:25], null, s7, v12, v[13:14]
	v_mad_co_u64_u32 v[25:26], null, s4, v23, 0
	s_delay_alu instid0(VALU_DEP_3) | instskip(SKIP_1) | instid1(VALU_DEP_4)
	v_mad_co_u64_u32 v[27:28], null, s5, v11, v[16:17]
	v_mad_co_u64_u32 v[28:29], null, s4, v21, 0
	v_dual_mov_b32 v16, v24 :: v_dual_mov_b32 v13, v20
	s_delay_alu instid0(VALU_DEP_4) | instskip(NEXT) | instid1(VALU_DEP_4)
	v_mov_b32_e32 v20, v26
	v_mov_b32_e32 v18, v27
	s_delay_alu instid0(VALU_DEP_3) | instskip(NEXT) | instid1(VALU_DEP_4)
	v_lshlrev_b64_e32 v[15:16], 2, v[15:16]
	v_mad_co_u64_u32 v[26:27], null, s5, v22, v[13:14]
	v_mov_b32_e32 v13, v29
	v_mad_co_u64_u32 v[30:31], null, s5, v23, v[20:21]
	v_lshlrev_b64_e32 v[17:18], 2, v[17:18]
	s_wait_alu 0xfffe
	v_add_co_u32 v31, s1, s12, v15
	s_wait_alu 0xf1ff
	v_add_co_ci_u32_e64 v32, s1, s13, v16, s1
	v_mov_b32_e32 v20, v26
	s_delay_alu instid0(VALU_DEP_3) | instskip(SKIP_1) | instid1(VALU_DEP_3)
	v_add_co_u32 v15, s1, v31, v17
	s_wait_alu 0xf1ff
	v_add_co_ci_u32_e64 v16, s1, v32, v18, s1
	s_delay_alu instid0(VALU_DEP_3)
	v_lshlrev_b64_e32 v[17:18], 2, v[19:20]
	v_mov_b32_e32 v26, v30
	v_mad_co_u64_u32 v[19:20], null, s5, v21, v[13:14]
	global_store_b32 v[15:16], v9, off
	v_add_co_u32 v15, s1, v31, v17
	s_wait_alu 0xf1ff
	v_add_co_ci_u32_e64 v16, s1, v32, v18, s1
	v_lshlrev_b64_e32 v[17:18], 2, v[25:26]
	v_mad_co_u64_u32 v[24:25], null, s4, v10, 0
	global_store_b32 v[15:16], v8, off
	v_mad_co_u64_u32 v[15:16], null, s4, v14, 0
	v_add_co_u32 v17, s1, v31, v17
	s_wait_alu 0xf1ff
	v_add_co_ci_u32_e64 v18, s1, v32, v18, s1
	v_mov_b32_e32 v13, v25
	v_mov_b32_e32 v29, v19
	global_store_b32 v[17:18], v7, off
	v_mad_co_u64_u32 v[17:18], null, s4, v1, 0
	v_mad_co_u64_u32 v[25:26], null, s5, v10, v[13:14]
	v_lshlrev_b64_e32 v[19:20], 2, v[28:29]
	s_delay_alu instid0(VALU_DEP_3) | instskip(NEXT) | instid1(VALU_DEP_4)
	v_mov_b32_e32 v13, v18
	v_mad_co_u64_u32 v[26:27], null, s5, v14, v[16:17]
	v_mad_co_u64_u32 v[27:28], null, s4, v0, 0
	s_delay_alu instid0(VALU_DEP_4) | instskip(SKIP_2) | instid1(VALU_DEP_4)
	v_add_co_u32 v18, s1, v31, v19
	s_wait_alu 0xf1ff
	v_add_co_ci_u32_e64 v19, s1, v32, v20, s1
	v_mov_b32_e32 v16, v26
	v_mad_co_u64_u32 v[29:30], null, s5, v1, v[13:14]
	v_mov_b32_e32 v13, v28
	global_store_b32 v[18:19], v6, off
	v_lshlrev_b64_e32 v[19:20], 2, v[24:25]
	v_lshlrev_b64_e32 v[15:16], 2, v[15:16]
	v_mad_co_u64_u32 v[24:25], null, s5, v0, v[13:14]
	v_mov_b32_e32 v18, v29
	s_delay_alu instid0(VALU_DEP_4) | instskip(SKIP_2) | instid1(VALU_DEP_3)
	v_add_co_u32 v19, s1, v31, v19
	s_wait_alu 0xf1ff
	v_add_co_ci_u32_e64 v20, s1, v32, v20, s1
	v_lshlrev_b64_e32 v[17:18], 2, v[17:18]
	v_mov_b32_e32 v28, v24
	v_add_co_u32 v15, s1, v31, v15
	s_wait_alu 0xf1ff
	v_add_co_ci_u32_e64 v16, s1, v32, v16, s1
	s_delay_alu instid0(VALU_DEP_3) | instskip(SKIP_3) | instid1(VALU_DEP_3)
	v_lshlrev_b64_e32 v[24:25], 2, v[27:28]
	v_add_co_u32 v17, s1, v31, v17
	s_wait_alu 0xf1ff
	v_add_co_ci_u32_e64 v18, s1, v32, v18, s1
	v_add_co_u32 v24, s1, v31, v24
	s_wait_alu 0xf1ff
	v_add_co_ci_u32_e64 v25, s1, v32, v25, s1
	s_clause 0x3
	global_store_b32 v[19:20], v4, off
	global_store_b32 v[15:16], v5, off
	;; [unrolled: 1-line block ×4, first 2 shown]
.LBB0_22:
	s_wait_alu 0xfffe
	s_or_b32 exec_lo, exec_lo, s10
	s_xor_b32 s1, s33, -1
	s_and_b32 s0, s0, vcc_lo
	s_wait_alu 0xfffe
	s_and_b32 s0, s1, s0
	s_wait_alu 0xfffe
	s_and_saveexec_b32 s1, s0
	s_cbranch_execz .LBB0_24
; %bb.23:
	v_mad_co_u64_u32 v[15:16], null, s6, v12, 0
	v_mad_co_u64_u32 v[17:18], null, s4, v11, 0
	;; [unrolled: 1-line block ×4, first 2 shown]
	s_delay_alu instid0(VALU_DEP_4) | instskip(SKIP_1) | instid1(VALU_DEP_4)
	v_mov_b32_e32 v13, v16
	s_lshl_b64 s[0:1], s[8:9], 2
	v_mov_b32_e32 v16, v18
	s_wait_alu 0xfffe
	s_add_nc_u64 s[0:1], s[2:3], s[0:1]
	v_mad_co_u64_u32 v[12:13], null, s7, v12, v[13:14]
	s_delay_alu instid0(VALU_DEP_2) | instskip(SKIP_1) | instid1(VALU_DEP_3)
	v_mad_co_u64_u32 v[26:27], null, s5, v11, v[16:17]
	v_mad_co_u64_u32 v[27:28], null, s4, v21, 0
	v_dual_mov_b32 v11, v20 :: v_dual_mov_b32 v16, v12
	v_mov_b32_e32 v12, v25
	s_delay_alu instid0(VALU_DEP_4) | instskip(NEXT) | instid1(VALU_DEP_3)
	v_mov_b32_e32 v18, v26
	v_lshlrev_b64_e32 v[15:16], 2, v[15:16]
	s_delay_alu instid0(VALU_DEP_3) | instskip(SKIP_1) | instid1(VALU_DEP_4)
	v_mad_co_u64_u32 v[25:26], null, s5, v22, v[11:12]
	v_mad_co_u64_u32 v[11:12], null, s5, v23, v[12:13]
	v_lshlrev_b64_e32 v[12:13], 2, v[17:18]
	s_wait_alu 0xfffe
	s_delay_alu instid0(VALU_DEP_4) | instskip(SKIP_2) | instid1(VALU_DEP_3)
	v_add_co_u32 v22, vcc_lo, s0, v15
	v_add_co_ci_u32_e32 v23, vcc_lo, s1, v16, vcc_lo
	v_mov_b32_e32 v20, v25
	v_add_co_u32 v12, vcc_lo, v22, v12
	s_wait_alu 0xfffd
	s_delay_alu instid0(VALU_DEP_3) | instskip(NEXT) | instid1(VALU_DEP_3)
	v_add_co_ci_u32_e32 v13, vcc_lo, v23, v13, vcc_lo
	v_lshlrev_b64_e32 v[15:16], 2, v[19:20]
	v_mov_b32_e32 v25, v11
	global_store_b32 v[12:13], v9, off
	v_mov_b32_e32 v9, v28
	v_add_co_u32 v11, vcc_lo, v22, v15
	s_wait_alu 0xfffd
	v_add_co_ci_u32_e32 v12, vcc_lo, v23, v16, vcc_lo
	v_lshlrev_b64_e32 v[15:16], 2, v[24:25]
	v_mad_co_u64_u32 v[17:18], null, s5, v21, v[9:10]
	v_mad_co_u64_u32 v[18:19], null, s4, v10, 0
	global_store_b32 v[11:12], v8, off
	v_add_co_u32 v15, vcc_lo, v22, v15
	s_wait_alu 0xfffd
	v_add_co_ci_u32_e32 v16, vcc_lo, v23, v16, vcc_lo
	v_mad_co_u64_u32 v[8:9], null, s4, v14, 0
	v_mad_co_u64_u32 v[11:12], null, s4, v1, 0
	global_store_b32 v[15:16], v7, off
	v_dual_mov_b32 v7, v19 :: v_dual_mov_b32 v28, v17
	s_delay_alu instid0(VALU_DEP_1) | instskip(SKIP_4) | instid1(VALU_DEP_4)
	v_mad_co_u64_u32 v[19:20], null, s5, v10, v[7:8]
	v_mov_b32_e32 v7, v12
	v_mad_co_u64_u32 v[9:10], null, s5, v14, v[9:10]
	v_mad_co_u64_u32 v[13:14], null, s4, v0, 0
	v_lshlrev_b64_e32 v[15:16], 2, v[27:28]
	v_mad_co_u64_u32 v[20:21], null, s5, v1, v[7:8]
	s_delay_alu instid0(VALU_DEP_4) | instskip(NEXT) | instid1(VALU_DEP_3)
	v_lshlrev_b64_e32 v[8:9], 2, v[8:9]
	v_add_co_u32 v15, vcc_lo, v22, v15
	s_delay_alu instid0(VALU_DEP_3) | instskip(SKIP_2) | instid1(VALU_DEP_2)
	v_dual_mov_b32 v1, v14 :: v_dual_mov_b32 v12, v20
	s_wait_alu 0xfffd
	v_add_co_ci_u32_e32 v16, vcc_lo, v23, v16, vcc_lo
	v_mad_co_u64_u32 v[0:1], null, s5, v0, v[1:2]
	global_store_b32 v[15:16], v6, off
	v_lshlrev_b64_e32 v[6:7], 2, v[18:19]
	v_lshlrev_b64_e32 v[10:11], 2, v[11:12]
	v_mov_b32_e32 v14, v0
	s_delay_alu instid0(VALU_DEP_3) | instskip(SKIP_1) | instid1(VALU_DEP_4)
	v_add_co_u32 v6, vcc_lo, v22, v6
	s_wait_alu 0xfffd
	v_add_co_ci_u32_e32 v7, vcc_lo, v23, v7, vcc_lo
	v_add_co_u32 v0, vcc_lo, v22, v8
	s_wait_alu 0xfffd
	v_add_co_ci_u32_e32 v1, vcc_lo, v23, v9, vcc_lo
	v_lshlrev_b64_e32 v[8:9], 2, v[13:14]
	v_add_co_u32 v10, vcc_lo, v22, v10
	s_wait_alu 0xfffd
	v_add_co_ci_u32_e32 v11, vcc_lo, v23, v11, vcc_lo
	s_delay_alu instid0(VALU_DEP_3)
	v_add_co_u32 v8, vcc_lo, v22, v8
	s_wait_alu 0xfffd
	v_add_co_ci_u32_e32 v9, vcc_lo, v23, v9, vcc_lo
	s_clause 0x3
	global_store_b32 v[6:7], v4, off
	global_store_b32 v[0:1], v5, off
	;; [unrolled: 1-line block ×4, first 2 shown]
.LBB0_24:
	s_nop 0
	s_sendmsg sendmsg(MSG_DEALLOC_VGPRS)
	s_endpgm
	.section	.rodata,"a",@progbits
	.p2align	6, 0x0
	.amdhsa_kernel fft_rtc_back_len336_factors_6_7_8_wgs_336_tpt_56_half_op_CI_CI_sbcc_twdbase8_2step_dirReg
		.amdhsa_group_segment_fixed_size 0
		.amdhsa_private_segment_fixed_size 0
		.amdhsa_kernarg_size 112
		.amdhsa_user_sgpr_count 2
		.amdhsa_user_sgpr_dispatch_ptr 0
		.amdhsa_user_sgpr_queue_ptr 0
		.amdhsa_user_sgpr_kernarg_segment_ptr 1
		.amdhsa_user_sgpr_dispatch_id 0
		.amdhsa_user_sgpr_private_segment_size 0
		.amdhsa_wavefront_size32 1
		.amdhsa_uses_dynamic_stack 0
		.amdhsa_enable_private_segment 0
		.amdhsa_system_sgpr_workgroup_id_x 1
		.amdhsa_system_sgpr_workgroup_id_y 0
		.amdhsa_system_sgpr_workgroup_id_z 0
		.amdhsa_system_sgpr_workgroup_info 0
		.amdhsa_system_vgpr_workitem_id 0
		.amdhsa_next_free_vgpr 64
		.amdhsa_next_free_sgpr 61
		.amdhsa_reserve_vcc 1
		.amdhsa_float_round_mode_32 0
		.amdhsa_float_round_mode_16_64 0
		.amdhsa_float_denorm_mode_32 3
		.amdhsa_float_denorm_mode_16_64 3
		.amdhsa_fp16_overflow 0
		.amdhsa_workgroup_processor_mode 1
		.amdhsa_memory_ordered 1
		.amdhsa_forward_progress 0
		.amdhsa_round_robin_scheduling 0
		.amdhsa_exception_fp_ieee_invalid_op 0
		.amdhsa_exception_fp_denorm_src 0
		.amdhsa_exception_fp_ieee_div_zero 0
		.amdhsa_exception_fp_ieee_overflow 0
		.amdhsa_exception_fp_ieee_underflow 0
		.amdhsa_exception_fp_ieee_inexact 0
		.amdhsa_exception_int_div_zero 0
	.end_amdhsa_kernel
	.text
.Lfunc_end0:
	.size	fft_rtc_back_len336_factors_6_7_8_wgs_336_tpt_56_half_op_CI_CI_sbcc_twdbase8_2step_dirReg, .Lfunc_end0-fft_rtc_back_len336_factors_6_7_8_wgs_336_tpt_56_half_op_CI_CI_sbcc_twdbase8_2step_dirReg
                                        ; -- End function
	.section	.AMDGPU.csdata,"",@progbits
; Kernel info:
; codeLenInByte = 6784
; NumSgprs: 63
; NumVgprs: 64
; ScratchSize: 0
; MemoryBound: 0
; FloatMode: 240
; IeeeMode: 1
; LDSByteSize: 0 bytes/workgroup (compile time only)
; SGPRBlocks: 7
; VGPRBlocks: 7
; NumSGPRsForWavesPerEU: 63
; NumVGPRsForWavesPerEU: 64
; Occupancy: 14
; WaveLimiterHint : 1
; COMPUTE_PGM_RSRC2:SCRATCH_EN: 0
; COMPUTE_PGM_RSRC2:USER_SGPR: 2
; COMPUTE_PGM_RSRC2:TRAP_HANDLER: 0
; COMPUTE_PGM_RSRC2:TGID_X_EN: 1
; COMPUTE_PGM_RSRC2:TGID_Y_EN: 0
; COMPUTE_PGM_RSRC2:TGID_Z_EN: 0
; COMPUTE_PGM_RSRC2:TIDIG_COMP_CNT: 0
	.text
	.p2alignl 7, 3214868480
	.fill 96, 4, 3214868480
	.type	__hip_cuid_a3f84b97505820b1,@object ; @__hip_cuid_a3f84b97505820b1
	.section	.bss,"aw",@nobits
	.globl	__hip_cuid_a3f84b97505820b1
__hip_cuid_a3f84b97505820b1:
	.byte	0                               ; 0x0
	.size	__hip_cuid_a3f84b97505820b1, 1

	.ident	"AMD clang version 19.0.0git (https://github.com/RadeonOpenCompute/llvm-project roc-6.4.0 25133 c7fe45cf4b819c5991fe208aaa96edf142730f1d)"
	.section	".note.GNU-stack","",@progbits
	.addrsig
	.addrsig_sym __hip_cuid_a3f84b97505820b1
	.amdgpu_metadata
---
amdhsa.kernels:
  - .args:
      - .actual_access:  read_only
        .address_space:  global
        .offset:         0
        .size:           8
        .value_kind:     global_buffer
      - .address_space:  global
        .offset:         8
        .size:           8
        .value_kind:     global_buffer
      - .offset:         16
        .size:           8
        .value_kind:     by_value
      - .actual_access:  read_only
        .address_space:  global
        .offset:         24
        .size:           8
        .value_kind:     global_buffer
      - .actual_access:  read_only
        .address_space:  global
        .offset:         32
        .size:           8
        .value_kind:     global_buffer
      - .actual_access:  read_only
        .address_space:  global
        .offset:         40
        .size:           8
        .value_kind:     global_buffer
      - .offset:         48
        .size:           8
        .value_kind:     by_value
      - .actual_access:  read_only
        .address_space:  global
        .offset:         56
        .size:           8
        .value_kind:     global_buffer
      - .actual_access:  read_only
        .address_space:  global
        .offset:         64
        .size:           8
        .value_kind:     global_buffer
      - .offset:         72
        .size:           4
        .value_kind:     by_value
      - .actual_access:  read_only
        .address_space:  global
        .offset:         80
        .size:           8
        .value_kind:     global_buffer
      - .actual_access:  read_only
        .address_space:  global
        .offset:         88
        .size:           8
        .value_kind:     global_buffer
      - .actual_access:  read_only
        .address_space:  global
        .offset:         96
        .size:           8
        .value_kind:     global_buffer
      - .actual_access:  write_only
        .address_space:  global
        .offset:         104
        .size:           8
        .value_kind:     global_buffer
    .group_segment_fixed_size: 0
    .kernarg_segment_align: 8
    .kernarg_segment_size: 112
    .language:       OpenCL C
    .language_version:
      - 2
      - 0
    .max_flat_workgroup_size: 336
    .name:           fft_rtc_back_len336_factors_6_7_8_wgs_336_tpt_56_half_op_CI_CI_sbcc_twdbase8_2step_dirReg
    .private_segment_fixed_size: 0
    .sgpr_count:     63
    .sgpr_spill_count: 0
    .symbol:         fft_rtc_back_len336_factors_6_7_8_wgs_336_tpt_56_half_op_CI_CI_sbcc_twdbase8_2step_dirReg.kd
    .uniform_work_group_size: 1
    .uses_dynamic_stack: false
    .vgpr_count:     64
    .vgpr_spill_count: 0
    .wavefront_size: 32
    .workgroup_processor_mode: 1
amdhsa.target:   amdgcn-amd-amdhsa--gfx1201
amdhsa.version:
  - 1
  - 2
...

	.end_amdgpu_metadata
